;; amdgpu-corpus repo=zjin-lcf/HeCBench kind=compiled arch=gfx90a opt=O3
	.text
	.amdgcn_target "amdgcn-amd-amdhsa--gfx90a"
	.amdhsa_code_object_version 6
	.protected	_Z18kernel_512_one_128PKfS0_S0_S0_Pf ; -- Begin function _Z18kernel_512_one_128PKfS0_S0_S0_Pf
	.globl	_Z18kernel_512_one_128PKfS0_S0_S0_Pf
	.p2align	8
	.type	_Z18kernel_512_one_128PKfS0_S0_S0_Pf,@function
_Z18kernel_512_one_128PKfS0_S0_S0_Pf:   ; @_Z18kernel_512_one_128PKfS0_S0_S0_Pf
; %bb.0:
	s_load_dwordx8 s[8:15], s[4:5], 0x0
	v_and_b32_e32 v1, 0x3ff, v0
	v_bfe_u32 v8, v0, 10, 10
	v_lshl_add_u32 v0, v8, 7, v1
	v_lshl_add_u32 v2, s6, 11, v0
	v_ashrrev_i32_e32 v3, 31, v2
	v_lshlrev_b64 v[4:5], 2, v[2:3]
	v_add_u32_e32 v6, 0x400, v2
	s_waitcnt lgkmcnt(0)
	v_mov_b32_e32 v9, s9
	v_add_co_u32_e32 v4, vcc, s8, v4
	v_ashrrev_i32_e32 v7, 31, v6
	v_addc_co_u32_e32 v5, vcc, v9, v5, vcc
	v_lshlrev_b64 v[6:7], 2, v[6:7]
	v_add_u32_e32 v2, 0x600, v2
	v_add_co_u32_e32 v6, vcc, s8, v6
	v_ashrrev_i32_e32 v3, 31, v2
	v_addc_co_u32_e32 v7, vcc, v9, v7, vcc
	v_lshlrev_b64 v[2:3], 2, v[2:3]
	v_add_co_u32_e32 v2, vcc, s8, v2
	v_lshlrev_b32_e32 v1, 2, v1
	v_addc_co_u32_e32 v3, vcc, v9, v3, vcc
	global_load_dword v9, v[4:5], off
	global_load_dword v10, v[4:5], off offset:2048
	global_load_dword v11, v[6:7], off
	global_load_dword v12, v[2:3], off
	global_load_dword v13, v1, s[12:13]
	global_load_dword v14, v1, s[14:15]
	s_load_dwordx2 s[2:3], s[4:5], 0x20
	s_add_i32 s0, 0, 0x2000
	v_lshlrev_b32_e32 v6, 2, v0
	v_add_u32_e32 v2, 0, v1
	v_add_u32_e32 v1, 0, v6
	;; [unrolled: 1-line block ×3, first 2 shown]
	v_mov_b32_e32 v7, s11
	v_add_co_u32_e32 v6, vcc, s10, v6
	s_mov_b32 s1, 0
	s_movk_i32 s7, 0x2000
	s_movk_i32 s8, 0x3000
	;; [unrolled: 1-line block ×5, first 2 shown]
	v_lshl_add_u32 v3, v8, 11, 0
	v_add_u32_e32 v5, 0x2000, v2
	v_addc_co_u32_e32 v7, vcc, 0, v7, vcc
	s_mov_b32 s4, 0
	v_mov_b32_e32 v15, 0
	s_waitcnt vmcnt(4)
	ds_write2st64_b32 v1, v9, v10 offset1:8
	s_waitcnt vmcnt(2)
	ds_write2st64_b32 v1, v11, v12 offset0:16 offset1:24
	s_waitcnt vmcnt(0)
	ds_write2st64_b32 v2, v13, v14 offset0:168 offset1:170
	ds_write_b32 v1, v15 offset:40960
	s_waitcnt lgkmcnt(0)
	s_barrier
.LBB0_1:                                ; =>This Loop Header: Depth=1
                                        ;     Child Loop BB0_2 Depth 2
	s_lshl_b32 s0, s4, 7
	s_lshl_b64 s[10:11], s[0:1], 2
	v_mov_b32_e32 v9, s11
	v_add_co_u32_e32 v8, vcc, s10, v6
	v_addc_co_u32_e32 v9, vcc, v7, v9, vcc
	v_add_co_u32_e32 v10, vcc, 0x1000, v8
	v_addc_co_u32_e32 v11, vcc, 0, v9, vcc
	;; [unrolled: 2-line block ×6, first 2 shown]
	global_load_dword v20, v[14:15], off offset:-4096
	global_load_dword v21, v[14:15], off
	global_load_dword v22, v[14:15], off offset:2048
	global_load_dword v23, v[18:19], off offset:-4096
	global_load_dword v24, v[18:19], off
	global_load_dword v25, v[18:19], off offset:2048
	v_add_co_u32_e32 v14, vcc, s13, v8
	v_addc_co_u32_e32 v15, vcc, 0, v9, vcc
	global_load_dword v18, v[8:9], off
	global_load_dword v19, v[8:9], off offset:2048
	global_load_dword v26, v[10:11], off
	global_load_dword v27, v[10:11], off offset:2048
	global_load_dword v28, v[12:13], off offset:2048
	;; [unrolled: 1-line block ×3, first 2 shown]
	global_load_dword v30, v[14:15], off
	global_load_dword v31, v[14:15], off offset:2048
	v_add_co_u32_e32 v8, vcc, 0x7000, v8
	v_addc_co_u32_e32 v9, vcc, 0, v9, vcc
	global_load_dword v10, v[8:9], off
	global_load_dword v11, v[8:9], off offset:2048
	s_mov_b32 s0, 0
	v_mov_b32_e32 v9, v5
	s_waitcnt vmcnt(9)
	ds_write_b32 v1, v18 offset:8192
	s_waitcnt vmcnt(7)
	ds_write2st64_b32 v4, v19, v26 offset0:8 offset1:16
	s_waitcnt vmcnt(6)
	ds_write2st64_b32 v4, v27, v20 offset0:24 offset1:32
	;; [unrolled: 2-line block ×3, first 2 shown]
	ds_write2st64_b32 v4, v22, v23 offset0:56 offset1:64
	s_waitcnt vmcnt(4)
	ds_write2st64_b32 v4, v29, v24 offset0:72 offset1:80
	s_waitcnt vmcnt(3)
	;; [unrolled: 2-line block ×4, first 2 shown]
	ds_write_b32 v4, v11 offset:30720
	s_waitcnt lgkmcnt(0)
	s_barrier
	ds_read_b32 v8, v1 offset:40960
.LBB0_2:                                ;   Parent Loop BB0_1 Depth=1
                                        ; =>  This Inner Loop Header: Depth=2
	v_add_u32_e32 v10, s0, v3
	ds_read_b32 v11, v9
	ds_read_b32 v12, v10
	s_add_i32 s0, s0, 64
	s_cmpk_eq_i32 s0, 0x100
	s_waitcnt lgkmcnt(0)
	v_fmac_f32_e32 v8, v12, v11
	ds_write_b32 v1, v8 offset:40960
	ds_read_b32 v11, v10 offset:4
	ds_read_b32 v12, v9 offset:512
	s_waitcnt lgkmcnt(0)
	v_fmac_f32_e32 v8, v11, v12
	ds_write_b32 v1, v8 offset:40960
	ds_read_b32 v11, v10 offset:8
	ds_read_b32 v12, v9 offset:1024
	;; [unrolled: 5-line block ×15, first 2 shown]
	v_add_u32_e32 v9, 0x2000, v9
	s_waitcnt lgkmcnt(0)
	v_fmac_f32_e32 v8, v10, v11
	ds_write_b32 v1, v8 offset:40960
	s_cbranch_scc0 .LBB0_2
; %bb.3:                                ;   in Loop: Header=BB0_1 Depth=1
	s_add_i32 s0, s4, 64
	v_add_u32_e32 v3, 0x100, v3
	s_cmpk_gt_u32 s4, 0x1bf
	s_mov_b32 s4, s0
	s_waitcnt lgkmcnt(0)
	s_barrier
	s_cbranch_scc0 .LBB0_1
; %bb.4:
	ds_read2st64_b32 v[2:3], v2 offset0:168 offset1:170
	ds_read_b32 v1, v1 offset:40960
	s_lshl_b32 s0, s6, 9
	s_ashr_i32 s1, s0, 31
	s_lshl_b64 s[0:1], s[0:1], 2
	s_add_u32 s0, s2, s0
	s_waitcnt lgkmcnt(0)
	v_fmac_f32_e32 v2, v3, v1
	s_addc_u32 s1, s3, s1
	v_max_f32_e32 v1, 0, v2
	v_lshlrev_b32_e32 v0, 2, v0
	global_store_dword v0, v1, s[0:1]
	s_endpgm
	.section	.rodata,"a",@progbits
	.p2align	6, 0x0
	.amdhsa_kernel _Z18kernel_512_one_128PKfS0_S0_S0_Pf
		.amdhsa_group_segment_fixed_size 0
		.amdhsa_private_segment_fixed_size 0
		.amdhsa_kernarg_size 40
		.amdhsa_user_sgpr_count 6
		.amdhsa_user_sgpr_private_segment_buffer 1
		.amdhsa_user_sgpr_dispatch_ptr 0
		.amdhsa_user_sgpr_queue_ptr 0
		.amdhsa_user_sgpr_kernarg_segment_ptr 1
		.amdhsa_user_sgpr_dispatch_id 0
		.amdhsa_user_sgpr_flat_scratch_init 0
		.amdhsa_user_sgpr_kernarg_preload_length 0
		.amdhsa_user_sgpr_kernarg_preload_offset 0
		.amdhsa_user_sgpr_private_segment_size 0
		.amdhsa_uses_dynamic_stack 0
		.amdhsa_system_sgpr_private_segment_wavefront_offset 0
		.amdhsa_system_sgpr_workgroup_id_x 1
		.amdhsa_system_sgpr_workgroup_id_y 0
		.amdhsa_system_sgpr_workgroup_id_z 0
		.amdhsa_system_sgpr_workgroup_info 0
		.amdhsa_system_vgpr_workitem_id 1
		.amdhsa_next_free_vgpr 32
		.amdhsa_next_free_sgpr 16
		.amdhsa_accum_offset 32
		.amdhsa_reserve_vcc 1
		.amdhsa_reserve_flat_scratch 0
		.amdhsa_float_round_mode_32 0
		.amdhsa_float_round_mode_16_64 0
		.amdhsa_float_denorm_mode_32 3
		.amdhsa_float_denorm_mode_16_64 3
		.amdhsa_dx10_clamp 1
		.amdhsa_ieee_mode 1
		.amdhsa_fp16_overflow 0
		.amdhsa_tg_split 0
		.amdhsa_exception_fp_ieee_invalid_op 0
		.amdhsa_exception_fp_denorm_src 0
		.amdhsa_exception_fp_ieee_div_zero 0
		.amdhsa_exception_fp_ieee_overflow 0
		.amdhsa_exception_fp_ieee_underflow 0
		.amdhsa_exception_fp_ieee_inexact 0
		.amdhsa_exception_int_div_zero 0
	.end_amdhsa_kernel
	.text
.Lfunc_end0:
	.size	_Z18kernel_512_one_128PKfS0_S0_S0_Pf, .Lfunc_end0-_Z18kernel_512_one_128PKfS0_S0_S0_Pf
                                        ; -- End function
	.section	.AMDGPU.csdata,"",@progbits
; Kernel info:
; codeLenInByte = 1292
; NumSgprs: 20
; NumVgprs: 32
; NumAgprs: 0
; TotalNumVgprs: 32
; ScratchSize: 0
; MemoryBound: 1
; FloatMode: 240
; IeeeMode: 1
; LDSByteSize: 0 bytes/workgroup (compile time only)
; SGPRBlocks: 2
; VGPRBlocks: 3
; NumSGPRsForWavesPerEU: 20
; NumVGPRsForWavesPerEU: 32
; AccumOffset: 32
; Occupancy: 8
; WaveLimiterHint : 1
; COMPUTE_PGM_RSRC2:SCRATCH_EN: 0
; COMPUTE_PGM_RSRC2:USER_SGPR: 6
; COMPUTE_PGM_RSRC2:TRAP_HANDLER: 0
; COMPUTE_PGM_RSRC2:TGID_X_EN: 1
; COMPUTE_PGM_RSRC2:TGID_Y_EN: 0
; COMPUTE_PGM_RSRC2:TGID_Z_EN: 0
; COMPUTE_PGM_RSRC2:TIDIG_COMP_CNT: 1
; COMPUTE_PGM_RSRC3_GFX90A:ACCUM_OFFSET: 7
; COMPUTE_PGM_RSRC3_GFX90A:TG_SPLIT: 0
	.text
	.protected	_Z18kernel_128_one_512PKfS0_S0_S0_Pf ; -- Begin function _Z18kernel_128_one_512PKfS0_S0_S0_Pf
	.globl	_Z18kernel_128_one_512PKfS0_S0_S0_Pf
	.p2align	8
	.type	_Z18kernel_128_one_512PKfS0_S0_S0_Pf,@function
_Z18kernel_128_one_512PKfS0_S0_S0_Pf:   ; @_Z18kernel_128_one_512PKfS0_S0_S0_Pf
; %bb.0:
	s_load_dwordx8 s[8:15], s[4:5], 0x0
	v_and_b32_e32 v20, 0x3ff, v0
	v_bfe_u32 v6, v0, 10, 10
	v_lshl_add_u32 v7, v6, 7, v20
	v_lshl_add_u32 v0, s6, 9, v7
	v_ashrrev_i32_e32 v1, 31, v0
	v_lshlrev_b64 v[0:1], 2, v[0:1]
	s_waitcnt lgkmcnt(0)
	v_mov_b32_e32 v2, s9
	v_add_co_u32_e32 v0, vcc, s8, v0
	v_addc_co_u32_e32 v1, vcc, v2, v1, vcc
	s_lshl_b32 s0, s7, 7
	global_load_dword v16, v[0:1], off
	v_add_u32_e32 v0, s0, v20
	v_ashrrev_i32_e32 v1, 31, v0
	v_lshlrev_b64 v[2:3], 2, v[0:1]
	v_mov_b32_e32 v1, s13
	v_add_co_u32_e32 v4, vcc, s12, v2
	v_addc_co_u32_e32 v5, vcc, v1, v3, vcc
	v_mov_b32_e32 v1, s15
	v_add_co_u32_e32 v2, vcc, s14, v2
	v_addc_co_u32_e32 v3, vcc, v1, v3, vcc
	global_load_dword v17, v[4:5], off
	global_load_dword v18, v[2:3], off
	v_lshlrev_b32_e32 v21, 9, v6
	v_add_u32_e32 v0, v0, v21
	v_ashrrev_i32_e32 v1, 31, v0
	v_add_u32_e32 v2, 0x800, v0
	v_lshlrev_b64 v[14:15], 2, v[0:1]
	v_ashrrev_i32_e32 v3, 31, v2
	v_mov_b32_e32 v1, s11
	v_add_co_u32_e32 v14, vcc, s10, v14
	v_add_u32_e32 v4, 0x1000, v0
	v_lshlrev_b64 v[2:3], 2, v[2:3]
	v_addc_co_u32_e32 v15, vcc, v1, v15, vcc
	v_ashrrev_i32_e32 v5, 31, v4
	v_add_co_u32_e32 v2, vcc, s10, v2
	v_add_u32_e32 v6, 0x1800, v0
	v_lshlrev_b64 v[4:5], 2, v[4:5]
	v_addc_co_u32_e32 v3, vcc, v1, v3, vcc
	v_lshl_add_u32 v23, v7, 2, 0
	v_ashrrev_i32_e32 v7, 31, v6
	v_add_co_u32_e32 v4, vcc, s10, v4
	v_add_u32_e32 v8, 0x2000, v0
	v_lshlrev_b64 v[6:7], 2, v[6:7]
	v_addc_co_u32_e32 v5, vcc, v1, v5, vcc
	v_ashrrev_i32_e32 v9, 31, v8
	v_add_co_u32_e32 v6, vcc, s10, v6
	v_add_u32_e32 v10, 0x2800, v0
	v_lshlrev_b64 v[8:9], 2, v[8:9]
	v_addc_co_u32_e32 v7, vcc, v1, v7, vcc
	;; [unrolled: 5-line block ×3, first 2 shown]
	v_ashrrev_i32_e32 v13, 31, v12
	v_add_co_u32_e32 v10, vcc, s10, v10
	v_mov_b32_e32 v19, 0
	v_lshl_add_u32 v22, v20, 2, 0
	v_lshlrev_b64 v[12:13], 2, v[12:13]
	v_addc_co_u32_e32 v11, vcc, v1, v11, vcc
	v_add_co_u32_e32 v12, vcc, s10, v12
	v_addc_co_u32_e32 v13, vcc, v1, v13, vcc
	v_add_u32_e32 v38, 0xe800, v0
	v_add_u32_e32 v40, 0xf000, v0
	;; [unrolled: 1-line block ×3, first 2 shown]
	v_ashrrev_i32_e32 v39, 31, v38
	v_lshlrev_b64 v[38:39], 2, v[38:39]
	v_ashrrev_i32_e32 v41, 31, v40
	v_lshlrev_b64 v[40:41], 2, v[40:41]
	;; [unrolled: 2-line block ×3, first 2 shown]
	s_load_dwordx2 s[2:3], s[4:5], 0x20
	s_waitcnt vmcnt(2)
	ds_write_b32 v23, v16
	s_waitcnt vmcnt(0)
	ds_write2st64_b32 v22, v17, v18 offset0:144 offset1:146
	ds_write_b32 v23, v19 offset:34816
	v_add_u32_e32 v16, 0x3800, v0
	v_ashrrev_i32_e32 v17, 31, v16
	v_lshlrev_b64 v[16:17], 2, v[16:17]
	v_add_co_u32_e32 v16, vcc, s10, v16
	s_waitcnt lgkmcnt(0)
	s_barrier
	v_addc_co_u32_e32 v17, vcc, v1, v17, vcc
	global_load_dword v18, v[14:15], off
	global_load_dword v19, v[2:3], off
	;; [unrolled: 1-line block ×8, first 2 shown]
	v_add_u32_e32 v2, 0x4000, v0
	v_ashrrev_i32_e32 v3, 31, v2
	v_lshlrev_b64 v[2:3], 2, v[2:3]
	v_add_u32_e32 v4, 0x4800, v0
	v_add_co_u32_e32 v2, vcc, s10, v2
	v_ashrrev_i32_e32 v5, 31, v4
	v_addc_co_u32_e32 v3, vcc, v1, v3, vcc
	v_lshlrev_b64 v[4:5], 2, v[4:5]
	v_add_u32_e32 v6, 0x5000, v0
	v_add_co_u32_e32 v4, vcc, s10, v4
	v_ashrrev_i32_e32 v7, 31, v6
	v_addc_co_u32_e32 v5, vcc, v1, v5, vcc
	;; [unrolled: 5-line block ×7, first 2 shown]
	v_lshlrev_b64 v[16:17], 2, v[16:17]
	v_add_co_u32_e32 v16, vcc, s10, v16
	v_addc_co_u32_e32 v17, vcc, v1, v17, vcc
	global_load_dword v30, v[2:3], off
	global_load_dword v31, v[4:5], off
	;; [unrolled: 1-line block ×8, first 2 shown]
	v_add_u32_e32 v6, 0x9000, v0
	v_add_u32_e32 v10, 0xa000, v0
	;; [unrolled: 1-line block ×5, first 2 shown]
	v_ashrrev_i32_e32 v7, 31, v6
	v_lshlrev_b64 v[6:7], 2, v[6:7]
	v_ashrrev_i32_e32 v11, 31, v10
	v_lshlrev_b64 v[10:11], 2, v[10:11]
	;; [unrolled: 2-line block ×5, first 2 shown]
	s_mov_b32 s1, 0
	s_waitcnt vmcnt(14)
	ds_write2st64_b32 v23, v18, v19 offset0:8 offset1:16
	s_waitcnt vmcnt(12)
	ds_write2st64_b32 v23, v24, v25 offset0:24 offset1:32
	;; [unrolled: 2-line block ×8, first 2 shown]
	v_add_u32_e32 v24, 0, v21
	s_waitcnt lgkmcnt(0)
	s_barrier
	ds_read_b32 v4, v24
	ds_read2st64_b32 v[2:3], v22 offset0:8 offset1:10
	ds_read_b32 v25, v23 offset:34816
	ds_read_b32 v26, v22 offset:30720
	v_add_u32_e32 v18, 0xc000, v0
	v_add_u32_e32 v30, 0xc800, v0
	;; [unrolled: 1-line block ×3, first 2 shown]
	s_waitcnt lgkmcnt(1)
	v_fmac_f32_e32 v25, v4, v2
	ds_write_b32 v23, v25 offset:34816
	ds_read_b32 v2, v24 offset:4
	v_add_u32_e32 v34, 0xe000, v0
	v_ashrrev_i32_e32 v19, 31, v18
	v_lshlrev_b64 v[18:19], 2, v[18:19]
	v_ashrrev_i32_e32 v31, 31, v30
	s_waitcnt lgkmcnt(0)
	v_fmac_f32_e32 v25, v2, v3
	ds_write_b32 v23, v25 offset:34816
	ds_read_b32 v4, v24 offset:8
	ds_read2st64_b32 v[2:3], v22 offset0:12 offset1:14
	v_lshlrev_b64 v[30:31], 2, v[30:31]
	v_ashrrev_i32_e32 v33, 31, v32
	v_lshlrev_b64 v[32:33], 2, v[32:33]
	v_ashrrev_i32_e32 v35, 31, v34
	s_waitcnt lgkmcnt(0)
	v_fmac_f32_e32 v25, v4, v2
	ds_write_b32 v23, v25 offset:34816
	ds_read_b32 v2, v24 offset:12
	v_lshlrev_b64 v[34:35], 2, v[34:35]
	s_waitcnt lgkmcnt(0)
	v_fmac_f32_e32 v25, v2, v3
	ds_write_b32 v23, v25 offset:34816
	ds_read_b32 v4, v24 offset:16
	ds_read2st64_b32 v[2:3], v22 offset0:16 offset1:18
	s_waitcnt lgkmcnt(0)
	v_fmac_f32_e32 v25, v4, v2
	ds_write_b32 v23, v25 offset:34816
	ds_read_b32 v2, v24 offset:20
	ds_read2st64_b32 v[4:5], v22 offset0:20 offset1:22
	s_waitcnt lgkmcnt(1)
	v_fmac_f32_e32 v25, v2, v3
	ds_write_b32 v23, v25 offset:34816
	ds_read_b32 v2, v24 offset:24
	s_waitcnt lgkmcnt(0)
	v_fmac_f32_e32 v25, v2, v4
	ds_write_b32 v23, v25 offset:34816
	ds_read_b32 v4, v24 offset:28
	ds_read2st64_b32 v[2:3], v22 offset0:24 offset1:26
	s_waitcnt lgkmcnt(1)
	v_fmac_f32_e32 v25, v4, v5
	ds_write_b32 v23, v25 offset:34816
	ds_read_b32 v4, v24 offset:32
	;; [unrolled: 9-line block ×14, first 2 shown]
	s_waitcnt lgkmcnt(0)
	v_fmac_f32_e32 v25, v4, v2
	ds_write_b32 v23, v25 offset:34816
	ds_read_b32 v2, v24 offset:132
	ds_read2st64_b32 v[8:9], v22 offset0:76 offset1:78
	ds_read2st64_b32 v[28:29], v22 offset0:80 offset1:82
	;; [unrolled: 1-line block ×3, first 2 shown]
	v_add_u32_e32 v4, 0x8800, v0
	s_waitcnt lgkmcnt(3)
	v_fmac_f32_e32 v25, v2, v3
	ds_write_b32 v23, v25 offset:34816
	ds_read_b32 v3, v24 offset:136
	v_add_u32_e32 v2, 0x8000, v0
	ds_read2st64_b32 v[44:45], v22 offset0:88 offset1:90
	s_waitcnt lgkmcnt(1)
	v_fmac_f32_e32 v25, v3, v8
	ds_write_b32 v23, v25 offset:34816
	ds_read_b32 v3, v24 offset:140
	v_add_u32_e32 v8, 0x9800, v0
	s_waitcnt lgkmcnt(0)
	v_fmac_f32_e32 v25, v3, v9
	ds_write_b32 v23, v25 offset:34816
	ds_read_b32 v3, v24 offset:144
	v_ashrrev_i32_e32 v9, 31, v8
	v_lshlrev_b64 v[8:9], 2, v[8:9]
	s_waitcnt lgkmcnt(0)
	v_fmac_f32_e32 v25, v3, v28
	ds_write_b32 v23, v25 offset:34816
	ds_read_b32 v3, v24 offset:148
	v_add_u32_e32 v28, 0xd000, v0
	s_waitcnt lgkmcnt(0)
	v_fmac_f32_e32 v25, v3, v29
	ds_write_b32 v23, v25 offset:34816
	ds_read_b32 v5, v24 offset:152
	v_ashrrev_i32_e32 v3, 31, v2
	v_lshlrev_b64 v[2:3], 2, v[2:3]
	v_add_co_u32_e32 v2, vcc, s10, v2
	s_waitcnt lgkmcnt(0)
	v_fmac_f32_e32 v25, v5, v36
	ds_write_b32 v23, v25 offset:34816
	ds_read_b32 v0, v24 offset:156
	v_ashrrev_i32_e32 v5, 31, v4
	v_lshlrev_b64 v[4:5], 2, v[4:5]
	v_addc_co_u32_e32 v3, vcc, v1, v3, vcc
	s_waitcnt lgkmcnt(0)
	v_fmac_f32_e32 v25, v0, v37
	ds_write_b32 v23, v25 offset:34816
	ds_read_b32 v0, v24 offset:160
	ds_read2st64_b32 v[36:37], v22 offset0:92 offset1:94
	v_add_co_u32_e32 v4, vcc, s10, v4
	v_addc_co_u32_e32 v5, vcc, v1, v5, vcc
	s_waitcnt lgkmcnt(1)
	v_fmac_f32_e32 v25, v0, v44
	ds_write_b32 v23, v25 offset:34816
	ds_read_b32 v0, v24 offset:164
	v_add_co_u32_e32 v6, vcc, s10, v6
	v_addc_co_u32_e32 v7, vcc, v1, v7, vcc
	s_waitcnt lgkmcnt(0)
	v_fmac_f32_e32 v25, v0, v45
	ds_write_b32 v23, v25 offset:34816
	ds_read_b32 v0, v24 offset:168
	ds_read2st64_b32 v[44:45], v22 offset0:96 offset1:98
	v_add_co_u32_e32 v8, vcc, s10, v8
	v_addc_co_u32_e32 v9, vcc, v1, v9, vcc
	s_waitcnt lgkmcnt(1)
	v_fmac_f32_e32 v25, v0, v36
	ds_write_b32 v23, v25 offset:34816
	ds_read_b32 v0, v24 offset:172
	v_add_co_u32_e32 v10, vcc, s10, v10
	;; [unrolled: 13-line block ×4, first 2 shown]
	v_addc_co_u32_e32 v19, vcc, v1, v19, vcc
	s_waitcnt lgkmcnt(0)
	v_fmac_f32_e32 v25, v0, v37
	ds_write_b32 v23, v25 offset:34816
	ds_read_b32 v0, v24 offset:192
	ds_read2st64_b32 v[36:37], v22 offset0:108 offset1:110
	v_ashrrev_i32_e32 v29, 31, v28
	v_lshlrev_b64 v[28:29], 2, v[28:29]
	s_waitcnt lgkmcnt(1)
	v_fmac_f32_e32 v25, v0, v44
	ds_write_b32 v23, v25 offset:34816
	ds_read_b32 v0, v24 offset:196
	s_waitcnt lgkmcnt(0)
	v_fmac_f32_e32 v25, v0, v45
	ds_write_b32 v23, v25 offset:34816
	ds_read_b32 v0, v24 offset:200
	ds_read2st64_b32 v[44:45], v22 offset0:112 offset1:114
	s_waitcnt lgkmcnt(1)
	v_fmac_f32_e32 v25, v0, v36
	ds_write_b32 v23, v25 offset:34816
	ds_read_b32 v0, v24 offset:204
	s_waitcnt lgkmcnt(0)
	v_fmac_f32_e32 v25, v0, v37
	ds_write_b32 v23, v25 offset:34816
	ds_read_b32 v0, v24 offset:208
	ds_read2st64_b32 v[36:37], v22 offset0:116 offset1:118
	s_waitcnt lgkmcnt(1)
	v_fmac_f32_e32 v25, v0, v44
	ds_write_b32 v23, v25 offset:34816
	ds_read_b32 v0, v24 offset:212
	s_waitcnt lgkmcnt(0)
	v_fmac_f32_e32 v25, v0, v45
	ds_write_b32 v23, v25 offset:34816
	ds_read_b32 v0, v24 offset:216
	s_waitcnt lgkmcnt(0)
	v_fmac_f32_e32 v25, v0, v36
	ds_write_b32 v23, v25 offset:34816
	ds_read_b32 v0, v24 offset:220
	s_waitcnt lgkmcnt(0)
	v_fmac_f32_e32 v25, v0, v37
	ds_write_b32 v23, v25 offset:34816
	ds_read_b32 v0, v24 offset:224
	s_waitcnt lgkmcnt(0)
	v_fmac_f32_e32 v25, v0, v26
	ds_write_b32 v23, v25 offset:34816
	ds_read_b32 v0, v24 offset:228
	ds_read_b32 v36, v22 offset:31232
	v_add_co_u32_e32 v26, vcc, s10, v30
	v_addc_co_u32_e32 v27, vcc, v1, v31, vcc
	s_waitcnt lgkmcnt(0)
	v_fmac_f32_e32 v25, v0, v36
	ds_write_b32 v23, v25 offset:34816
	ds_read_b32 v0, v24 offset:232
	ds_read_b32 v30, v22 offset:31744
	v_add_co_u32_e32 v28, vcc, s10, v28
	v_addc_co_u32_e32 v29, vcc, v1, v29, vcc
	s_waitcnt lgkmcnt(0)
	v_fmac_f32_e32 v25, v0, v30
	ds_write_b32 v23, v25 offset:34816
	ds_read_b32 v0, v24 offset:236
	ds_read_b32 v36, v22 offset:32256
	v_add_co_u32_e32 v30, vcc, s10, v32
	v_addc_co_u32_e32 v31, vcc, v1, v33, vcc
	s_waitcnt lgkmcnt(0)
	v_fmac_f32_e32 v25, v0, v36
	ds_write_b32 v23, v25 offset:34816
	ds_read_b32 v0, v24 offset:240
	ds_read_b32 v36, v22 offset:32768
	v_add_co_u32_e32 v32, vcc, s10, v34
	v_addc_co_u32_e32 v33, vcc, v1, v35, vcc
	s_waitcnt lgkmcnt(0)
	v_fmac_f32_e32 v25, v0, v36
	ds_write_b32 v23, v25 offset:34816
	ds_read_b32 v0, v24 offset:244
	ds_read_b32 v36, v22 offset:33280
	v_add_co_u32_e32 v34, vcc, s10, v38
	v_addc_co_u32_e32 v35, vcc, v1, v39, vcc
	s_waitcnt lgkmcnt(0)
	v_fmac_f32_e32 v25, v0, v36
	ds_write_b32 v23, v25 offset:34816
	ds_read_b32 v0, v24 offset:248
	ds_read_b32 v38, v22 offset:33792
	v_add_co_u32_e32 v36, vcc, s10, v40
	v_addc_co_u32_e32 v37, vcc, v1, v41, vcc
	s_waitcnt lgkmcnt(0)
	v_fmac_f32_e32 v25, v0, v38
	ds_write_b32 v23, v25 offset:34816
	ds_read_b32 v38, v24 offset:252
	ds_read_b32 v39, v22 offset:34304
	v_add_co_u32_e32 v0, vcc, s10, v42
	v_addc_co_u32_e32 v1, vcc, v1, v43, vcc
	s_waitcnt lgkmcnt(0)
	v_fmac_f32_e32 v25, v38, v39
	ds_write_b32 v23, v25 offset:34816
	s_waitcnt lgkmcnt(0)
	s_barrier
	global_load_dword v25, v[2:3], off
	global_load_dword v38, v[4:5], off
	;; [unrolled: 1-line block ×15, first 2 shown]
                                        ; kill: killed $vgpr34 killed $vgpr35
                                        ; kill: killed $vgpr12 killed $vgpr13
                                        ; kill: killed $vgpr18 killed $vgpr19
                                        ; kill: killed $vgpr2 killed $vgpr3
                                        ; kill: killed $vgpr30 killed $vgpr31
                                        ; kill: killed $vgpr8 killed $vgpr9
                                        ; kill: killed $vgpr36 killed $vgpr37
                                        ; kill: killed $vgpr14 killed $vgpr15
                                        ; kill: killed $vgpr26 killed $vgpr27
                                        ; kill: killed $vgpr4 killed $vgpr5
                                        ; kill: killed $vgpr32 killed $vgpr33
                                        ; kill: killed $vgpr10 killed $vgpr11
                                        ; kill: killed $vgpr16 killed $vgpr17
                                        ; kill: killed $vgpr28 killed $vgpr29
                                        ; kill: killed $vgpr6 killed $vgpr7
	s_nop 0
	global_load_dword v0, v[0:1], off
	v_add_u32_e32 v1, 0x800, v22
	v_add_u32_e32 v2, 0x100, v24
	s_waitcnt vmcnt(14)
	ds_write2st64_b32 v23, v25, v38 offset0:8 offset1:16
	s_waitcnt vmcnt(12)
	ds_write2st64_b32 v23, v39, v40 offset0:24 offset1:32
	s_waitcnt vmcnt(10)
	ds_write2st64_b32 v23, v41, v42 offset0:40 offset1:48
	s_waitcnt vmcnt(8)
	ds_write2st64_b32 v23, v43, v44 offset0:56 offset1:64
	s_waitcnt vmcnt(6)
	ds_write2st64_b32 v23, v45, v46 offset0:72 offset1:80
	s_waitcnt vmcnt(4)
	ds_write2st64_b32 v23, v47, v48 offset0:88 offset1:96
	s_waitcnt vmcnt(2)
	ds_write2st64_b32 v23, v49, v50 offset0:104 offset1:112
	s_waitcnt vmcnt(0)
	ds_write2st64_b32 v23, v51, v0 offset0:120 offset1:128
	s_waitcnt lgkmcnt(0)
	s_barrier
	ds_read_b32 v0, v23 offset:34816
.LBB1_1:                                ; =>This Inner Loop Header: Depth=1
	v_add_u32_e32 v3, s1, v2
	ds_read_b32 v4, v1
	ds_read_b32 v5, v3
	s_add_i32 s1, s1, 64
	s_cmpk_lg_i32 s1, 0x100
	s_waitcnt lgkmcnt(0)
	v_fmac_f32_e32 v0, v5, v4
	ds_write_b32 v23, v0 offset:34816
	ds_read_b32 v4, v3 offset:4
	ds_read_b32 v5, v1 offset:512
	s_waitcnt lgkmcnt(0)
	v_fmac_f32_e32 v0, v4, v5
	ds_write_b32 v23, v0 offset:34816
	ds_read_b32 v4, v3 offset:8
	ds_read_b32 v5, v1 offset:1024
	;; [unrolled: 5-line block ×15, first 2 shown]
	v_add_u32_e32 v1, 0x2000, v1
	s_waitcnt lgkmcnt(0)
	v_fmac_f32_e32 v0, v3, v4
	ds_write_b32 v23, v0 offset:34816
	s_cbranch_scc1 .LBB1_1
; %bb.2:
	s_lshl_b32 s4, s6, 11
	s_ashr_i32 s5, s4, 31
	s_waitcnt lgkmcnt(0)
	s_barrier
	s_lshl_b64 s[4:5], s[4:5], 2
	ds_read2st64_b32 v[0:1], v22 offset0:144 offset1:146
	ds_read_b32 v2, v23 offset:34816
	s_add_u32 s2, s2, s4
	s_addc_u32 s3, s3, s5
	s_ashr_i32 s1, s0, 31
	s_lshl_b64 s[0:1], s[0:1], 2
	s_add_u32 s0, s2, s0
	s_addc_u32 s1, s3, s1
	s_waitcnt lgkmcnt(0)
	v_fmac_f32_e32 v0, v1, v2
	v_add_lshl_u32 v1, v21, v20, 2
	global_store_dword v1, v0, s[0:1]
	s_endpgm
	.section	.rodata,"a",@progbits
	.p2align	6, 0x0
	.amdhsa_kernel _Z18kernel_128_one_512PKfS0_S0_S0_Pf
		.amdhsa_group_segment_fixed_size 0
		.amdhsa_private_segment_fixed_size 0
		.amdhsa_kernarg_size 40
		.amdhsa_user_sgpr_count 6
		.amdhsa_user_sgpr_private_segment_buffer 1
		.amdhsa_user_sgpr_dispatch_ptr 0
		.amdhsa_user_sgpr_queue_ptr 0
		.amdhsa_user_sgpr_kernarg_segment_ptr 1
		.amdhsa_user_sgpr_dispatch_id 0
		.amdhsa_user_sgpr_flat_scratch_init 0
		.amdhsa_user_sgpr_kernarg_preload_length 0
		.amdhsa_user_sgpr_kernarg_preload_offset 0
		.amdhsa_user_sgpr_private_segment_size 0
		.amdhsa_uses_dynamic_stack 0
		.amdhsa_system_sgpr_private_segment_wavefront_offset 0
		.amdhsa_system_sgpr_workgroup_id_x 1
		.amdhsa_system_sgpr_workgroup_id_y 1
		.amdhsa_system_sgpr_workgroup_id_z 0
		.amdhsa_system_sgpr_workgroup_info 0
		.amdhsa_system_vgpr_workitem_id 1
		.amdhsa_next_free_vgpr 52
		.amdhsa_next_free_sgpr 16
		.amdhsa_accum_offset 52
		.amdhsa_reserve_vcc 1
		.amdhsa_reserve_flat_scratch 0
		.amdhsa_float_round_mode_32 0
		.amdhsa_float_round_mode_16_64 0
		.amdhsa_float_denorm_mode_32 3
		.amdhsa_float_denorm_mode_16_64 3
		.amdhsa_dx10_clamp 1
		.amdhsa_ieee_mode 1
		.amdhsa_fp16_overflow 0
		.amdhsa_tg_split 0
		.amdhsa_exception_fp_ieee_invalid_op 0
		.amdhsa_exception_fp_denorm_src 0
		.amdhsa_exception_fp_ieee_div_zero 0
		.amdhsa_exception_fp_ieee_overflow 0
		.amdhsa_exception_fp_ieee_underflow 0
		.amdhsa_exception_fp_ieee_inexact 0
		.amdhsa_exception_int_div_zero 0
	.end_amdhsa_kernel
	.text
.Lfunc_end1:
	.size	_Z18kernel_128_one_512PKfS0_S0_S0_Pf, .Lfunc_end1-_Z18kernel_128_one_512PKfS0_S0_S0_Pf
                                        ; -- End function
	.section	.AMDGPU.csdata,"",@progbits
; Kernel info:
; codeLenInByte = 4068
; NumSgprs: 20
; NumVgprs: 52
; NumAgprs: 0
; TotalNumVgprs: 52
; ScratchSize: 0
; MemoryBound: 1
; FloatMode: 240
; IeeeMode: 1
; LDSByteSize: 0 bytes/workgroup (compile time only)
; SGPRBlocks: 2
; VGPRBlocks: 6
; NumSGPRsForWavesPerEU: 20
; NumVGPRsForWavesPerEU: 52
; AccumOffset: 52
; Occupancy: 8
; WaveLimiterHint : 1
; COMPUTE_PGM_RSRC2:SCRATCH_EN: 0
; COMPUTE_PGM_RSRC2:USER_SGPR: 6
; COMPUTE_PGM_RSRC2:TRAP_HANDLER: 0
; COMPUTE_PGM_RSRC2:TGID_X_EN: 1
; COMPUTE_PGM_RSRC2:TGID_Y_EN: 1
; COMPUTE_PGM_RSRC2:TGID_Z_EN: 0
; COMPUTE_PGM_RSRC2:TIDIG_COMP_CNT: 1
; COMPUTE_PGM_RSRC3_GFX90A:ACCUM_OFFSET: 12
; COMPUTE_PGM_RSRC3_GFX90A:TG_SPLIT: 0
	.text
	.p2alignl 6, 3212836864
	.fill 256, 4, 3212836864
	.type	__hip_cuid_6ce70f0263247aaf,@object ; @__hip_cuid_6ce70f0263247aaf
	.section	.bss,"aw",@nobits
	.globl	__hip_cuid_6ce70f0263247aaf
__hip_cuid_6ce70f0263247aaf:
	.byte	0                               ; 0x0
	.size	__hip_cuid_6ce70f0263247aaf, 1

	.ident	"AMD clang version 19.0.0git (https://github.com/RadeonOpenCompute/llvm-project roc-6.4.0 25133 c7fe45cf4b819c5991fe208aaa96edf142730f1d)"
	.section	".note.GNU-stack","",@progbits
	.addrsig
	.addrsig_sym __hip_cuid_6ce70f0263247aaf
	.amdgpu_metadata
---
amdhsa.kernels:
  - .agpr_count:     0
    .args:
      - .actual_access:  read_only
        .address_space:  global
        .offset:         0
        .size:           8
        .value_kind:     global_buffer
      - .actual_access:  read_only
        .address_space:  global
        .offset:         8
        .size:           8
        .value_kind:     global_buffer
      - .actual_access:  read_only
        .address_space:  global
        .offset:         16
        .size:           8
        .value_kind:     global_buffer
      - .actual_access:  read_only
        .address_space:  global
        .offset:         24
        .size:           8
        .value_kind:     global_buffer
      - .actual_access:  write_only
        .address_space:  global
        .offset:         32
        .size:           8
        .value_kind:     global_buffer
    .group_segment_fixed_size: 0
    .kernarg_segment_align: 8
    .kernarg_segment_size: 40
    .language:       OpenCL C
    .language_version:
      - 2
      - 0
    .max_flat_workgroup_size: 1024
    .name:           _Z18kernel_512_one_128PKfS0_S0_S0_Pf
    .private_segment_fixed_size: 0
    .sgpr_count:     20
    .sgpr_spill_count: 0
    .symbol:         _Z18kernel_512_one_128PKfS0_S0_S0_Pf.kd
    .uniform_work_group_size: 1
    .uses_dynamic_stack: false
    .vgpr_count:     32
    .vgpr_spill_count: 0
    .wavefront_size: 64
  - .agpr_count:     0
    .args:
      - .actual_access:  read_only
        .address_space:  global
        .offset:         0
        .size:           8
        .value_kind:     global_buffer
      - .actual_access:  read_only
        .address_space:  global
        .offset:         8
        .size:           8
        .value_kind:     global_buffer
      - .actual_access:  read_only
        .address_space:  global
        .offset:         16
        .size:           8
        .value_kind:     global_buffer
      - .actual_access:  read_only
        .address_space:  global
        .offset:         24
        .size:           8
        .value_kind:     global_buffer
      - .actual_access:  write_only
        .address_space:  global
        .offset:         32
        .size:           8
        .value_kind:     global_buffer
    .group_segment_fixed_size: 0
    .kernarg_segment_align: 8
    .kernarg_segment_size: 40
    .language:       OpenCL C
    .language_version:
      - 2
      - 0
    .max_flat_workgroup_size: 1024
    .name:           _Z18kernel_128_one_512PKfS0_S0_S0_Pf
    .private_segment_fixed_size: 0
    .sgpr_count:     20
    .sgpr_spill_count: 0
    .symbol:         _Z18kernel_128_one_512PKfS0_S0_S0_Pf.kd
    .uniform_work_group_size: 1
    .uses_dynamic_stack: false
    .vgpr_count:     52
    .vgpr_spill_count: 0
    .wavefront_size: 64
amdhsa.target:   amdgcn-amd-amdhsa--gfx90a
amdhsa.version:
  - 1
  - 2
...

	.end_amdgpu_metadata
